;; amdgpu-corpus repo=ROCm/rocFFT kind=compiled arch=gfx950 opt=O3
	.text
	.amdgcn_target "amdgcn-amd-amdhsa--gfx950"
	.amdhsa_code_object_version 6
	.protected	fft_rtc_fwd_len704_factors_2_2_2_2_11_2_2_wgs_176_tpt_88_halfLds_dp_op_CI_CI_unitstride_sbrr_dirReg ; -- Begin function fft_rtc_fwd_len704_factors_2_2_2_2_11_2_2_wgs_176_tpt_88_halfLds_dp_op_CI_CI_unitstride_sbrr_dirReg
	.globl	fft_rtc_fwd_len704_factors_2_2_2_2_11_2_2_wgs_176_tpt_88_halfLds_dp_op_CI_CI_unitstride_sbrr_dirReg
	.p2align	8
	.type	fft_rtc_fwd_len704_factors_2_2_2_2_11_2_2_wgs_176_tpt_88_halfLds_dp_op_CI_CI_unitstride_sbrr_dirReg,@function
fft_rtc_fwd_len704_factors_2_2_2_2_11_2_2_wgs_176_tpt_88_halfLds_dp_op_CI_CI_unitstride_sbrr_dirReg: ; @fft_rtc_fwd_len704_factors_2_2_2_2_11_2_2_wgs_176_tpt_88_halfLds_dp_op_CI_CI_unitstride_sbrr_dirReg
; %bb.0:
	s_load_dwordx4 s[4:7], s[0:1], 0x58
	s_load_dwordx4 s[8:11], s[0:1], 0x0
	;; [unrolled: 1-line block ×3, first 2 shown]
	v_mul_u32_u24_e32 v1, 0x2e9, v0
	v_lshrrev_b32_e32 v32, 16, v1
	v_lshl_add_u32 v6, s2, 1, v32
	v_mov_b32_e32 v2, 0
	s_waitcnt lgkmcnt(0)
	v_cmp_lt_u64_e64 s[2:3], s[10:11], 2
	v_mov_b32_e32 v7, v2
	s_and_b64 vcc, exec, s[2:3]
	v_mov_b64_e32 v[4:5], 0
	s_cbranch_vccnz .LBB0_8
; %bb.1:
	s_load_dwordx2 s[2:3], s[0:1], 0x10
	s_add_u32 s16, s14, 8
	s_addc_u32 s17, s15, 0
	s_add_u32 s18, s12, 8
	s_addc_u32 s19, s13, 0
	s_waitcnt lgkmcnt(0)
	s_add_u32 s20, s2, 8
	v_mov_b64_e32 v[4:5], 0
	s_addc_u32 s21, s3, 0
	s_mov_b64 s[22:23], 1
	v_mov_b64_e32 v[46:47], v[4:5]
.LBB0_2:                                ; =>This Inner Loop Header: Depth=1
	s_load_dwordx2 s[24:25], s[20:21], 0x0
                                        ; implicit-def: $vgpr50_vgpr51
	s_waitcnt lgkmcnt(0)
	v_or_b32_e32 v3, s25, v7
	v_cmp_ne_u64_e32 vcc, 0, v[2:3]
	s_and_saveexec_b64 s[2:3], vcc
	s_xor_b64 s[26:27], exec, s[2:3]
	s_cbranch_execz .LBB0_4
; %bb.3:                                ;   in Loop: Header=BB0_2 Depth=1
	v_cvt_f32_u32_e32 v1, s24
	v_cvt_f32_u32_e32 v3, s25
	s_sub_u32 s2, 0, s24
	s_subb_u32 s3, 0, s25
	v_fmac_f32_e32 v1, 0x4f800000, v3
	v_rcp_f32_e32 v1, v1
	s_nop 0
	v_mul_f32_e32 v1, 0x5f7ffffc, v1
	v_mul_f32_e32 v3, 0x2f800000, v1
	v_trunc_f32_e32 v3, v3
	v_fmac_f32_e32 v1, 0xcf800000, v3
	v_cvt_u32_f32_e32 v3, v3
	v_cvt_u32_f32_e32 v1, v1
	v_mul_lo_u32 v8, s2, v3
	v_mul_hi_u32 v10, s2, v1
	v_mul_lo_u32 v9, s3, v1
	v_add_u32_e32 v10, v10, v8
	v_mul_lo_u32 v12, s2, v1
	v_add_u32_e32 v13, v10, v9
	v_mul_hi_u32 v8, v1, v12
	v_mul_hi_u32 v11, v1, v13
	v_mul_lo_u32 v10, v1, v13
	v_mov_b32_e32 v9, v2
	v_lshl_add_u64 v[8:9], v[8:9], 0, v[10:11]
	v_mul_hi_u32 v11, v3, v12
	v_mul_lo_u32 v12, v3, v12
	v_add_co_u32_e32 v8, vcc, v8, v12
	v_mul_hi_u32 v10, v3, v13
	s_nop 0
	v_addc_co_u32_e32 v8, vcc, v9, v11, vcc
	v_mov_b32_e32 v9, v2
	s_nop 0
	v_addc_co_u32_e32 v11, vcc, 0, v10, vcc
	v_mul_lo_u32 v10, v3, v13
	v_lshl_add_u64 v[8:9], v[8:9], 0, v[10:11]
	v_add_co_u32_e32 v1, vcc, v1, v8
	v_mul_lo_u32 v10, s2, v1
	s_nop 0
	v_addc_co_u32_e32 v3, vcc, v3, v9, vcc
	v_mul_lo_u32 v8, s2, v3
	v_mul_hi_u32 v9, s2, v1
	v_add_u32_e32 v8, v9, v8
	v_mul_lo_u32 v9, s3, v1
	v_add_u32_e32 v12, v8, v9
	v_mul_hi_u32 v14, v3, v10
	v_mul_lo_u32 v15, v3, v10
	v_mul_hi_u32 v9, v1, v12
	v_mul_lo_u32 v8, v1, v12
	v_mul_hi_u32 v10, v1, v10
	v_mov_b32_e32 v11, v2
	v_lshl_add_u64 v[8:9], v[10:11], 0, v[8:9]
	v_add_co_u32_e32 v8, vcc, v8, v15
	v_mul_hi_u32 v13, v3, v12
	s_nop 0
	v_addc_co_u32_e32 v8, vcc, v9, v14, vcc
	v_mul_lo_u32 v10, v3, v12
	s_nop 0
	v_addc_co_u32_e32 v11, vcc, 0, v13, vcc
	v_mov_b32_e32 v9, v2
	v_lshl_add_u64 v[8:9], v[8:9], 0, v[10:11]
	v_add_co_u32_e32 v1, vcc, v1, v8
	v_mul_hi_u32 v10, v6, v1
	s_nop 0
	v_addc_co_u32_e32 v3, vcc, v3, v9, vcc
	v_mad_u64_u32 v[8:9], s[2:3], v6, v3, 0
	v_mov_b32_e32 v11, v2
	v_lshl_add_u64 v[8:9], v[10:11], 0, v[8:9]
	v_mad_u64_u32 v[12:13], s[2:3], v7, v1, 0
	v_add_co_u32_e32 v1, vcc, v8, v12
	v_mad_u64_u32 v[10:11], s[2:3], v7, v3, 0
	s_nop 0
	v_addc_co_u32_e32 v8, vcc, v9, v13, vcc
	v_mov_b32_e32 v9, v2
	s_nop 0
	v_addc_co_u32_e32 v11, vcc, 0, v11, vcc
	v_lshl_add_u64 v[8:9], v[8:9], 0, v[10:11]
	v_mul_lo_u32 v1, s25, v8
	v_mul_lo_u32 v3, s24, v9
	v_mad_u64_u32 v[10:11], s[2:3], s24, v8, 0
	v_add3_u32 v1, v11, v3, v1
	v_sub_u32_e32 v3, v7, v1
	v_mov_b32_e32 v11, s25
	v_sub_co_u32_e32 v14, vcc, v6, v10
	v_lshl_add_u64 v[12:13], v[8:9], 0, 1
	s_nop 0
	v_subb_co_u32_e64 v3, s[2:3], v3, v11, vcc
	v_subrev_co_u32_e64 v10, s[2:3], s24, v14
	v_subb_co_u32_e32 v1, vcc, v7, v1, vcc
	s_nop 0
	v_subbrev_co_u32_e64 v3, s[2:3], 0, v3, s[2:3]
	v_cmp_le_u32_e64 s[2:3], s25, v3
	v_cmp_le_u32_e32 vcc, s25, v1
	s_nop 0
	v_cndmask_b32_e64 v11, 0, -1, s[2:3]
	v_cmp_le_u32_e64 s[2:3], s24, v10
	s_nop 1
	v_cndmask_b32_e64 v10, 0, -1, s[2:3]
	v_cmp_eq_u32_e64 s[2:3], s25, v3
	s_nop 1
	v_cndmask_b32_e64 v3, v11, v10, s[2:3]
	v_lshl_add_u64 v[10:11], v[8:9], 0, 2
	v_cmp_ne_u32_e64 s[2:3], 0, v3
	s_nop 1
	v_cndmask_b32_e64 v3, v13, v11, s[2:3]
	v_cndmask_b32_e64 v11, 0, -1, vcc
	v_cmp_le_u32_e32 vcc, s24, v14
	s_nop 1
	v_cndmask_b32_e64 v13, 0, -1, vcc
	v_cmp_eq_u32_e32 vcc, s25, v1
	s_nop 1
	v_cndmask_b32_e32 v1, v11, v13, vcc
	v_cmp_ne_u32_e32 vcc, 0, v1
	v_cndmask_b32_e64 v1, v12, v10, s[2:3]
	s_nop 0
	v_cndmask_b32_e32 v51, v9, v3, vcc
	v_cndmask_b32_e32 v50, v8, v1, vcc
.LBB0_4:                                ;   in Loop: Header=BB0_2 Depth=1
	s_andn2_saveexec_b64 s[2:3], s[26:27]
	s_cbranch_execz .LBB0_6
; %bb.5:                                ;   in Loop: Header=BB0_2 Depth=1
	v_cvt_f32_u32_e32 v1, s24
	s_sub_i32 s26, 0, s24
	v_mov_b32_e32 v51, v2
	v_rcp_iflag_f32_e32 v1, v1
	s_nop 0
	v_mul_f32_e32 v1, 0x4f7ffffe, v1
	v_cvt_u32_f32_e32 v1, v1
	v_mul_lo_u32 v3, s26, v1
	v_mul_hi_u32 v3, v1, v3
	v_add_u32_e32 v1, v1, v3
	v_mul_hi_u32 v1, v6, v1
	v_mul_lo_u32 v3, v1, s24
	v_sub_u32_e32 v3, v6, v3
	v_add_u32_e32 v8, 1, v1
	v_subrev_u32_e32 v9, s24, v3
	v_cmp_le_u32_e32 vcc, s24, v3
	s_nop 1
	v_cndmask_b32_e32 v3, v3, v9, vcc
	v_cndmask_b32_e32 v1, v1, v8, vcc
	v_add_u32_e32 v8, 1, v1
	v_cmp_le_u32_e32 vcc, s24, v3
	s_nop 1
	v_cndmask_b32_e32 v50, v1, v8, vcc
.LBB0_6:                                ;   in Loop: Header=BB0_2 Depth=1
	s_or_b64 exec, exec, s[2:3]
	v_mad_u64_u32 v[8:9], s[2:3], v50, s24, 0
	s_load_dwordx2 s[2:3], s[18:19], 0x0
	v_mul_lo_u32 v1, v51, s24
	v_mul_lo_u32 v3, v50, s25
	s_load_dwordx2 s[24:25], s[16:17], 0x0
	s_add_u32 s22, s22, 1
	v_add3_u32 v1, v9, v3, v1
	v_sub_co_u32_e32 v3, vcc, v6, v8
	s_addc_u32 s23, s23, 0
	s_nop 0
	v_subb_co_u32_e32 v1, vcc, v7, v1, vcc
	s_add_u32 s16, s16, 8
	s_waitcnt lgkmcnt(0)
	v_mul_lo_u32 v6, s2, v1
	v_mul_lo_u32 v7, s3, v3
	v_mad_u64_u32 v[4:5], s[2:3], s2, v3, v[4:5]
	s_addc_u32 s17, s17, 0
	v_add3_u32 v5, v7, v5, v6
	v_mul_lo_u32 v1, s24, v1
	v_mul_lo_u32 v6, s25, v3
	v_mad_u64_u32 v[46:47], s[2:3], s24, v3, v[46:47]
	s_add_u32 s18, s18, 8
	v_add3_u32 v47, v6, v47, v1
	s_addc_u32 s19, s19, 0
	v_mov_b64_e32 v[6:7], s[10:11]
	s_add_u32 s20, s20, 8
	v_cmp_ge_u64_e32 vcc, s[22:23], v[6:7]
	s_addc_u32 s21, s21, 0
	s_cbranch_vccnz .LBB0_9
; %bb.7:                                ;   in Loop: Header=BB0_2 Depth=1
	v_mov_b64_e32 v[6:7], v[50:51]
	s_branch .LBB0_2
.LBB0_8:
	v_mov_b64_e32 v[46:47], v[4:5]
	v_mov_b64_e32 v[50:51], v[6:7]
.LBB0_9:
	s_load_dwordx2 s[0:1], s[0:1], 0x28
	s_lshl_b64 s[16:17], s[10:11], 3
	s_add_u32 s2, s14, s16
	s_addc_u32 s3, s15, s17
                                        ; implicit-def: $vgpr48
	s_waitcnt lgkmcnt(0)
	v_cmp_gt_u64_e32 vcc, s[0:1], v[50:51]
	v_cmp_le_u64_e64 s[0:1], s[0:1], v[50:51]
	s_and_saveexec_b64 s[10:11], s[0:1]
	s_xor_b64 s[0:1], exec, s[10:11]
; %bb.10:
	s_mov_b32 s10, 0x2e8ba2f
	v_mul_hi_u32 v1, v0, s10
	v_mul_u32_u24_e32 v1, 0x58, v1
	v_sub_u32_e32 v48, v0, v1
                                        ; implicit-def: $vgpr0
                                        ; implicit-def: $vgpr4_vgpr5
; %bb.11:
	s_or_saveexec_b64 s[10:11], s[0:1]
                                        ; implicit-def: $vgpr26_vgpr27
                                        ; implicit-def: $vgpr22_vgpr23
                                        ; implicit-def: $vgpr30_vgpr31
                                        ; implicit-def: $vgpr18_vgpr19
                                        ; implicit-def: $vgpr10_vgpr11
                                        ; implicit-def: $vgpr6_vgpr7
                                        ; implicit-def: $vgpr14_vgpr15
                                        ; implicit-def: $vgpr2_vgpr3
	s_xor_b64 exec, exec, s[10:11]
	s_cbranch_execz .LBB0_13
; %bb.12:
	s_add_u32 s0, s12, s16
	s_addc_u32 s1, s13, s17
	s_load_dwordx2 s[0:1], s[0:1], 0x0
	s_mov_b32 s12, 0x2e8ba2f
	s_waitcnt lgkmcnt(0)
	v_mul_lo_u32 v1, s1, v50
	v_mul_lo_u32 v6, s0, v51
	v_mad_u64_u32 v[2:3], s[0:1], s0, v50, 0
	v_add3_u32 v3, v3, v6, v1
	v_mul_hi_u32 v1, v0, s12
	v_mul_u32_u24_e32 v1, 0x58, v1
	v_sub_u32_e32 v48, v0, v1
	v_lshl_add_u64 v[0:1], v[2:3], 4, s[4:5]
	v_lshl_add_u64 v[0:1], v[4:5], 4, v[0:1]
	v_lshlrev_b32_e32 v2, 4, v48
	v_mov_b32_e32 v3, 0
	v_lshl_add_u64 v[34:35], v[0:1], 0, v[2:3]
	s_movk_i32 s0, 0x1000
	v_add_co_u32_e64 v36, s[0:1], s0, v34
	s_nop 1
	v_addc_co_u32_e64 v37, s[0:1], 0, v35, s[0:1]
	s_movk_i32 s0, 0x2000
	s_nop 0
	v_add_co_u32_e64 v38, s[0:1], s0, v34
	global_load_dwordx4 v[0:3], v[34:35], off
	global_load_dwordx4 v[4:7], v[34:35], off offset:1408
	global_load_dwordx4 v[12:15], v[36:37], off offset:1536
	;; [unrolled: 1-line block ×3, first 2 shown]
	v_addc_co_u32_e64 v39, s[0:1], 0, v35, s[0:1]
	global_load_dwordx4 v[16:19], v[34:35], off offset:2816
	global_load_dwordx4 v[20:23], v[36:37], off offset:128
	;; [unrolled: 1-line block ×4, first 2 shown]
.LBB0_13:
	s_or_b64 exec, exec, s[10:11]
	v_and_b32_e32 v32, 1, v32
	v_mov_b32_e32 v33, 0x2c0
	v_cmp_eq_u32_e64 s[0:1], 1, v32
	s_waitcnt vmcnt(5)
	v_add_f64 v[14:15], v[2:3], -v[14:15]
	s_waitcnt vmcnt(1)
	v_add_f64 v[30:31], v[18:19], -v[30:31]
	v_cndmask_b32_e64 v78, 0, v33, s[0:1]
	v_add_f64 v[34:35], v[0:1], -v[12:13]
	v_fma_f64 v[12:13], v[2:3], 2.0, -v[14:15]
	v_add_f64 v[2:3], v[4:5], -v[8:9]
	v_add_f64 v[38:39], v[16:17], -v[28:29]
	v_fma_f64 v[28:29], v[18:19], 2.0, -v[30:31]
	s_waitcnt vmcnt(0)
	v_add_f64 v[18:19], v[20:21], -v[24:25]
	v_lshlrev_b32_e32 v49, 3, v78
	v_fma_f64 v[32:33], v[0:1], 2.0, -v[34:35]
	v_fma_f64 v[0:1], v[4:5], 2.0, -v[2:3]
	;; [unrolled: 1-line block ×4, first 2 shown]
	v_lshl_add_u32 v4, v48, 4, 0
	v_add_u32_e32 v56, 0, v49
	v_add_u32_e32 v20, 0xb0, v48
	v_lshlrev_b32_e32 v58, 3, v48
	v_lshl_add_u32 v21, v20, 4, v56
	v_sub_u32_e32 v79, v4, v58
	v_add_f64 v[8:9], v[6:7], -v[10:11]
	v_add_u32_e32 v10, 0x58, v48
	ds_write_b128 v21, v[36:39]
	v_add_u32_e32 v38, 0x108, v48
	v_add_u32_e32 v77, v79, v49
	v_and_b32_e32 v59, 1, v48
	v_fma_f64 v[6:7], v[6:7], 2.0, -v[8:9]
	v_add_f64 v[24:25], v[22:23], -v[26:27]
	v_add_u32_e32 v5, v4, v49
	v_lshl_add_u32 v11, v10, 4, v56
	v_lshl_add_u32 v39, v38, 4, v56
	v_add_u32_e32 v57, 0x800, v77
	v_add_u32_e32 v63, 0xc00, v77
	v_lshlrev_b32_e32 v4, 4, v59
	s_load_dwordx2 s[2:3], s[2:3], 0x0
	v_fma_f64 v[22:23], v[22:23], 2.0, -v[24:25]
	ds_write_b128 v5, v[32:35]
	ds_write_b128 v11, v[0:3]
	;; [unrolled: 1-line block ×3, first 2 shown]
	s_waitcnt lgkmcnt(0)
	s_barrier
	v_add_u32_e32 v76, v56, v58
	ds_read2_b64 v[0:3], v57 offset0:8 offset1:96
	ds_read2_b64 v[16:19], v77 offset0:88 offset1:176
	;; [unrolled: 1-line block ×3, first 2 shown]
	ds_read_b64 v[26:27], v76
	ds_read_b64 v[36:37], v77 offset:4928
	s_waitcnt lgkmcnt(0)
	s_barrier
	ds_write_b128 v5, v[12:15]
	ds_write_b128 v11, v[6:9]
	;; [unrolled: 1-line block ×4, first 2 shown]
	s_waitcnt lgkmcnt(0)
	s_barrier
	global_load_dwordx4 v[4:7], v4, s[8:9]
	v_lshlrev_b32_e32 v61, 1, v10
	v_lshlrev_b32_e32 v62, 1, v20
	ds_read2_b64 v[8:11], v57 offset0:8 offset1:96
	ds_read2_b64 v[12:15], v63 offset0:56 offset1:144
	;; [unrolled: 1-line block ×3, first 2 shown]
	ds_read_b64 v[24:25], v76
	ds_read_b64 v[28:29], v77 offset:4928
	v_lshlrev_b32_e32 v64, 1, v38
	v_lshlrev_b32_e32 v60, 1, v48
	s_movk_i32 s0, 0xfc
	s_waitcnt lgkmcnt(0)
	s_barrier
	s_movk_i32 s1, 0x1f0
	s_movk_i32 s4, 0x3f0
	s_waitcnt vmcnt(0)
	v_mul_f64 v[52:53], v[2:3], v[6:7]
	v_mul_f64 v[30:31], v[10:11], v[6:7]
	;; [unrolled: 1-line block ×8, first 2 shown]
	v_fmac_f64_e32 v[52:53], v[10:11], v[4:5]
	v_fma_f64 v[32:33], v[32:33], v[4:5], -v[38:39]
	v_fmac_f64_e32 v[40:41], v[12:13], v[4:5]
	v_fma_f64 v[2:3], v[2:3], v[4:5], -v[30:31]
	v_fmac_f64_e32 v[6:7], v[28:29], v[4:5]
	v_add_f64 v[12:13], v[24:25], -v[52:53]
	v_fmac_f64_e32 v[44:45], v[14:15], v[4:5]
	v_add_f64 v[2:3], v[26:27], -v[2:3]
	v_fma_f64 v[14:15], v[24:25], 2.0, -v[12:13]
	v_add_f64 v[24:25], v[16:17], -v[32:33]
	v_add_f64 v[32:33], v[8:9], -v[6:7]
	v_and_or_b32 v6, v60, s0, v59
	v_fma_f64 v[34:35], v[34:35], v[4:5], -v[42:43]
	v_fma_f64 v[10:11], v[36:37], v[4:5], -v[54:55]
	v_fma_f64 v[4:5], v[26:27], 2.0, -v[2:3]
	v_lshl_add_u32 v38, v6, 3, v56
	s_movk_i32 s0, 0x1fc
	ds_write2_b64 v38, v[4:5], v[2:3] offset1:2
	v_and_or_b32 v2, v61, s0, v59
	s_movk_i32 s0, 0x3fc
	v_fma_f64 v[16:17], v[16:17], 2.0, -v[24:25]
	v_lshl_add_u32 v39, v2, 3, v56
	v_and_or_b32 v2, v62, s0, v59
	v_add_f64 v[28:29], v[18:19], -v[34:35]
	v_add_f64 v[10:11], v[0:1], -v[10:11]
	ds_write2_b64 v39, v[16:17], v[24:25] offset1:2
	v_lshl_add_u32 v16, v2, 3, v56
	v_and_or_b32 v2, v64, s0, v59
	v_add_f64 v[26:27], v[20:21], -v[40:41]
	v_add_f64 v[30:31], v[22:23], -v[44:45]
	v_fma_f64 v[18:19], v[18:19], 2.0, -v[28:29]
	v_fma_f64 v[0:1], v[0:1], 2.0, -v[10:11]
	v_lshl_add_u32 v17, v2, 3, v56
	v_and_b32_e32 v59, 3, v48
	v_fma_f64 v[20:21], v[20:21], 2.0, -v[26:27]
	v_fma_f64 v[22:23], v[22:23], 2.0, -v[30:31]
	;; [unrolled: 1-line block ×3, first 2 shown]
	ds_write2_b64 v16, v[18:19], v[28:29] offset1:2
	ds_write2_b64 v17, v[0:1], v[10:11] offset1:2
	s_waitcnt lgkmcnt(0)
	s_barrier
	ds_read2_b64 v[0:3], v57 offset0:8 offset1:96
	ds_read2_b64 v[4:7], v77 offset0:88 offset1:176
	;; [unrolled: 1-line block ×3, first 2 shown]
	ds_read_b64 v[28:29], v76
	ds_read_b64 v[36:37], v77 offset:4928
	s_waitcnt lgkmcnt(0)
	s_barrier
	ds_write2_b64 v38, v[14:15], v[12:13] offset1:2
	ds_write2_b64 v39, v[20:21], v[26:27] offset1:2
	;; [unrolled: 1-line block ×4, first 2 shown]
	v_lshlrev_b32_e32 v12, 4, v59
	s_waitcnt lgkmcnt(0)
	s_barrier
	global_load_dwordx4 v[12:15], v12, s[8:9] offset:32
	ds_read2_b64 v[16:19], v57 offset0:8 offset1:96
	ds_read2_b64 v[20:23], v63 offset0:56 offset1:144
	ds_read2_b64 v[24:27], v77 offset0:88 offset1:176
	ds_read_b64 v[30:31], v76
	ds_read_b64 v[32:33], v77 offset:4928
	s_movk_i32 s0, 0xf8
	s_waitcnt lgkmcnt(0)
	s_barrier
	s_waitcnt vmcnt(0)
	v_mul_f64 v[34:35], v[18:19], v[14:15]
	v_mul_f64 v[38:39], v[20:21], v[14:15]
	;; [unrolled: 1-line block ×8, first 2 shown]
	v_fmac_f64_e32 v[40:41], v[20:21], v[12:13]
	v_fma_f64 v[2:3], v[2:3], v[12:13], -v[34:35]
	v_fmac_f64_e32 v[14:15], v[32:33], v[12:13]
	v_fmac_f64_e32 v[44:45], v[22:23], v[12:13]
	v_add_f64 v[2:3], v[28:29], -v[2:3]
	v_add_f64 v[34:35], v[24:25], -v[40:41]
	;; [unrolled: 1-line block ×3, first 2 shown]
	v_and_or_b32 v14, v60, s0, v59
	v_fma_f64 v[8:9], v[8:9], v[12:13], -v[38:39]
	v_fmac_f64_e32 v[52:53], v[18:19], v[12:13]
	v_fma_f64 v[18:19], v[36:37], v[12:13], -v[54:55]
	v_add_f64 v[36:37], v[26:27], -v[44:45]
	v_fma_f64 v[20:21], v[28:29], 2.0, -v[2:3]
	v_lshl_add_u32 v44, v14, 3, v56
	s_movk_i32 s0, 0x1f8
	v_add_f64 v[8:9], v[4:5], -v[8:9]
	ds_write2_b64 v44, v[20:21], v[2:3] offset1:4
	v_and_or_b32 v2, v61, s0, v59
	v_fma_f64 v[10:11], v[10:11], v[12:13], -v[42:43]
	v_fma_f64 v[4:5], v[4:5], 2.0, -v[8:9]
	v_lshl_add_u32 v2, v2, 3, v56
	s_movk_i32 s0, 0x3f8
	v_add_f64 v[10:11], v[6:7], -v[10:11]
	v_add_f64 v[18:19], v[0:1], -v[18:19]
	ds_write2_b64 v2, v[4:5], v[8:9] offset1:4
	v_and_or_b32 v3, v62, s0, v59
	v_and_or_b32 v4, v64, s0, v59
	v_fma_f64 v[6:7], v[6:7], 2.0, -v[10:11]
	v_fma_f64 v[0:1], v[0:1], 2.0, -v[18:19]
	v_lshl_add_u32 v3, v3, 3, v56
	v_lshl_add_u32 v4, v4, 3, v56
	v_add_f64 v[12:13], v[30:31], -v[52:53]
	ds_write2_b64 v3, v[6:7], v[10:11] offset1:4
	ds_write2_b64 v4, v[0:1], v[18:19] offset1:4
	v_and_b32_e32 v0, 7, v48
	v_fma_f64 v[28:29], v[30:31], 2.0, -v[12:13]
	v_fma_f64 v[30:31], v[24:25], 2.0, -v[34:35]
	v_lshlrev_b32_e32 v1, 4, v0
	v_fma_f64 v[38:39], v[26:27], 2.0, -v[36:37]
	v_fma_f64 v[42:43], v[16:17], 2.0, -v[40:41]
	s_waitcnt lgkmcnt(0)
	s_barrier
	ds_read2_b64 v[24:27], v57 offset0:8 offset1:96
	ds_read2_b64 v[14:17], v77 offset0:88 offset1:176
	;; [unrolled: 1-line block ×3, first 2 shown]
	ds_read_b64 v[6:7], v76
	ds_read_b64 v[32:33], v77 offset:4928
	s_waitcnt lgkmcnt(0)
	s_barrier
	ds_write2_b64 v44, v[28:29], v[12:13] offset1:4
	ds_write2_b64 v2, v[30:31], v[34:35] offset1:4
	;; [unrolled: 1-line block ×4, first 2 shown]
	s_waitcnt lgkmcnt(0)
	s_barrier
	global_load_dwordx4 v[28:31], v1, s[8:9] offset:96
	s_movk_i32 s0, 0xf0
	v_and_or_b32 v1, v60, s0, v0
	v_and_or_b32 v2, v61, s1, v0
	;; [unrolled: 1-line block ×4, first 2 shown]
	v_lshl_add_u32 v59, v1, 3, v56
	v_lshl_add_u32 v60, v2, 3, v56
	;; [unrolled: 1-line block ×4, first 2 shown]
	ds_read2_b64 v[34:37], v57 offset0:8 offset1:96
	ds_read2_b64 v[38:41], v77 offset0:88 offset1:176
	;; [unrolled: 1-line block ×3, first 2 shown]
	ds_read_b64 v[54:55], v76
	ds_read_b64 v[56:57], v77 offset:4928
	v_cmp_gt_u32_e64 s[0:1], 64, v48
	s_waitcnt lgkmcnt(0)
	s_barrier
	s_waitcnt lgkmcnt(0)
                                        ; implicit-def: $vgpr18_vgpr19
	s_waitcnt vmcnt(0)
	v_mul_f64 v[0:1], v[36:37], v[30:31]
	v_mul_f64 v[2:3], v[42:43], v[30:31]
	;; [unrolled: 1-line block ×4, first 2 shown]
	v_fma_f64 v[10:11], v[26:27], v[28:29], -v[0:1]
	v_fma_f64 v[0:1], v[20:21], v[28:29], -v[2:3]
	;; [unrolled: 1-line block ×4, first 2 shown]
	v_add_f64 v[0:1], v[14:15], -v[0:1]
	v_add_f64 v[4:5], v[16:17], -v[2:3]
	;; [unrolled: 1-line block ×4, first 2 shown]
	v_fma_f64 v[2:3], v[16:17], 2.0, -v[4:5]
	v_fma_f64 v[14:15], v[14:15], 2.0, -v[0:1]
	v_fma_f64 v[52:53], v[6:7], 2.0, -v[12:13]
	v_fma_f64 v[6:7], v[24:25], 2.0, -v[8:9]
	ds_write2_b64 v59, v[52:53], v[12:13] offset1:8
	ds_write2_b64 v60, v[14:15], v[0:1] offset1:8
	;; [unrolled: 1-line block ×4, first 2 shown]
	s_waitcnt lgkmcnt(0)
	s_barrier
	s_and_saveexec_b64 s[4:5], s[0:1]
	s_cbranch_execz .LBB0_15
; %bb.14:
	v_add3_u32 v16, 0, v58, v49
	ds_read_b64 v[52:53], v76
	ds_read2st64_b64 v[12:15], v16 offset0:1 offset1:2
	ds_read2st64_b64 v[0:3], v16 offset0:3 offset1:4
	ds_read2st64_b64 v[4:7], v16 offset0:5 offset1:6
	ds_read2st64_b64 v[8:11], v16 offset0:7 offset1:8
	ds_read2st64_b64 v[16:19], v16 offset0:9 offset1:10
.LBB0_15:
	s_or_b64 exec, exec, s[4:5]
	v_mul_f64 v[24:25], v[26:27], v[30:31]
	v_fmac_f64_e32 v[24:25], v[36:37], v[28:29]
	v_mul_f64 v[26:27], v[20:21], v[30:31]
	v_mul_f64 v[36:37], v[22:23], v[30:31]
	;; [unrolled: 1-line block ×3, first 2 shown]
	v_fmac_f64_e32 v[26:27], v[42:43], v[28:29]
	v_fmac_f64_e32 v[36:37], v[44:45], v[28:29]
	;; [unrolled: 1-line block ×3, first 2 shown]
	v_add_f64 v[20:21], v[54:55], -v[24:25]
	v_add_f64 v[24:25], v[38:39], -v[26:27]
	;; [unrolled: 1-line block ×4, first 2 shown]
	v_fma_f64 v[42:43], v[54:55], 2.0, -v[20:21]
	v_fma_f64 v[22:23], v[38:39], 2.0, -v[24:25]
	v_fma_f64 v[26:27], v[40:41], 2.0, -v[28:29]
	v_fma_f64 v[30:31], v[34:35], 2.0, -v[32:33]
	s_waitcnt lgkmcnt(0)
	s_barrier
	ds_write2_b64 v59, v[42:43], v[20:21] offset1:8
	ds_write2_b64 v60, v[22:23], v[24:25] offset1:8
	;; [unrolled: 1-line block ×4, first 2 shown]
	s_waitcnt lgkmcnt(0)
	s_barrier
	s_waitcnt lgkmcnt(0)
                                        ; implicit-def: $vgpr38_vgpr39
	s_and_saveexec_b64 s[4:5], s[0:1]
	s_cbranch_execz .LBB0_17
; %bb.16:
	v_add3_u32 v36, 0, v58, v49
	ds_read_b64 v[42:43], v76
	ds_read2st64_b64 v[20:23], v36 offset0:1 offset1:2
	ds_read2st64_b64 v[24:27], v36 offset0:3 offset1:4
	;; [unrolled: 1-line block ×5, first 2 shown]
.LBB0_17:
	s_or_b64 exec, exec, s[4:5]
	v_and_b32_e32 v80, 15, v48
	v_mul_u32_u24_e32 v40, 10, v80
	v_lshlrev_b32_e32 v40, 4, v40
	global_load_dwordx4 v[62:65], v40, s[8:9] offset:224
	global_load_dwordx4 v[82:85], v40, s[8:9] offset:240
	;; [unrolled: 1-line block ×10, first 2 shown]
	s_waitcnt lgkmcnt(0)
	s_barrier
	s_waitcnt vmcnt(9)
	v_mul_f64 v[68:69], v[20:21], v[64:65]
	v_mul_f64 v[70:71], v[12:13], v[64:65]
	s_waitcnt vmcnt(8)
	v_mul_f64 v[118:119], v[22:23], v[84:85]
	v_mul_f64 v[64:65], v[14:15], v[84:85]
	;; [unrolled: 3-line block ×10, first 2 shown]
	v_fma_f64 v[72:73], v[12:13], v[62:63], -v[68:69]
	v_fmac_f64_e32 v[70:71], v[20:21], v[62:63]
	v_fma_f64 v[68:69], v[14:15], v[82:83], -v[118:119]
	v_fmac_f64_e32 v[64:65], v[22:23], v[82:83]
	;; [unrolled: 2-line block ×10, first 2 shown]
	v_lshrrev_b32_e32 v30, 4, v48
	s_and_saveexec_b64 s[4:5], s[0:1]
	s_cbranch_execz .LBB0_19
; %bb.18:
	s_mov_b32 s20, 0xfd768dbf
	s_mov_b32 s26, 0xf8bb580b
	v_add_f64 v[82:83], v[70:71], -v[74:75]
	s_mov_b32 s21, 0xbfd207e7
	s_mov_b32 s22, 0x9bcd5057
	;; [unrolled: 1-line block ×3, first 2 shown]
	v_add_f64 v[32:33], v[64:65], -v[66:67]
	s_mov_b32 s27, 0x3fe14ced
	s_mov_b32 s18, 0x8764f0ba
	v_add_f64 v[38:39], v[72:73], v[28:29]
	v_mul_f64 v[84:85], v[82:83], s[20:21]
	s_mov_b32 s23, 0xbfeeb42a
	v_add_f64 v[10:11], v[58:59], -v[60:61]
	s_mov_b32 s17, 0xbfe82f19
	s_mov_b32 s14, 0x7f775887
	v_add_f64 v[26:27], v[68:69], v[16:17]
	v_mul_f64 v[34:35], v[32:33], s[26:27]
	s_mov_b32 s19, 0x3feaeb8c
	v_fma_f64 v[86:87], s[22:23], v[38:39], v[84:85]
	v_add_f64 v[4:5], v[54:55], -v[56:57]
	s_mov_b32 s13, 0x3fed1bb4
	s_mov_b32 s12, 0x8eee2c13
	;; [unrolled: 1-line block ×3, first 2 shown]
	v_add_f64 v[8:9], v[62:63], v[24:25]
	v_mul_f64 v[18:19], v[10:11], s[16:17]
	s_mov_b32 s15, 0xbfe4f49e
	v_fma_f64 v[36:37], s[18:19], v[26:27], v[34:35]
	v_add_f64 v[86:87], v[52:53], v[86:87]
	v_add_f64 v[2:3], v[20:21], v[22:23]
	v_mul_f64 v[6:7], v[4:5], s[12:13]
	s_mov_b32 s11, 0x3fda9628
	v_add_f64 v[36:37], v[36:37], v[86:87]
	v_fma_f64 v[86:87], s[14:15], v[8:9], v[18:19]
	v_fma_f64 v[84:85], v[38:39], s[22:23], -v[84:85]
	v_add_f64 v[36:37], v[86:87], v[36:37]
	v_fma_f64 v[86:87], s[10:11], v[2:3], v[6:7]
	s_mov_b32 s28, 0x43842ef
	v_fma_f64 v[34:35], v[26:27], s[18:19], -v[34:35]
	v_add_f64 v[84:85], v[52:53], v[84:85]
	v_add_f64 v[36:37], v[86:87], v[36:37]
	v_add_f64 v[86:87], v[40:41], -v[44:45]
	s_mov_b32 s29, 0xbfefac9e
	s_mov_b32 s24, 0x640f44db
	v_add_f64 v[34:35], v[34:35], v[84:85]
	v_fma_f64 v[18:19], v[8:9], s[14:15], -v[18:19]
	v_add_f64 v[0:1], v[12:13], v[14:15]
	s_mov_b32 s25, 0xbfc2375f
	v_mul_f64 v[88:89], v[86:87], s[28:29]
	v_fma_f64 v[6:7], v[2:3], s[10:11], -v[6:7]
	v_add_f64 v[18:19], v[18:19], v[34:35]
	v_fma_f64 v[84:85], v[0:1], s[24:25], -v[88:89]
	v_add_f64 v[6:7], v[6:7], v[18:19]
	s_mov_b32 s35, 0x3fefac9e
	s_mov_b32 s34, s28
	v_mul_f64 v[34:35], v[82:83], s[16:17]
	v_add_f64 v[6:7], v[84:85], v[6:7]
	v_mul_f64 v[18:19], v[32:33], s[34:35]
	v_fma_f64 v[84:85], s[14:15], v[38:39], v[34:35]
	v_fma_f64 v[90:91], s[24:25], v[0:1], v[88:89]
	v_add_f64 v[84:85], v[52:53], v[84:85]
	v_fma_f64 v[88:89], s[24:25], v[26:27], v[18:19]
	s_mov_b32 s31, 0xbfe14ced
	s_mov_b32 s30, s26
	v_add_f64 v[84:85], v[88:89], v[84:85]
	v_mul_f64 v[88:89], v[10:11], s[30:31]
	v_add_f64 v[36:37], v[90:91], v[36:37]
	v_fma_f64 v[90:91], s[18:19], v[8:9], v[88:89]
	v_fma_f64 v[34:35], v[38:39], s[14:15], -v[34:35]
	v_add_f64 v[84:85], v[90:91], v[84:85]
	v_mul_f64 v[90:91], v[4:5], s[20:21]
	v_fma_f64 v[18:19], v[26:27], s[24:25], -v[18:19]
	v_add_f64 v[34:35], v[52:53], v[34:35]
	v_fma_f64 v[92:93], s[22:23], v[2:3], v[90:91]
	v_add_f64 v[18:19], v[18:19], v[34:35]
	v_fma_f64 v[34:35], v[8:9], s[18:19], -v[88:89]
	v_add_f64 v[84:85], v[92:93], v[84:85]
	v_mul_f64 v[92:93], v[86:87], s[12:13]
	v_add_f64 v[18:19], v[34:35], v[18:19]
	v_fma_f64 v[34:35], v[2:3], s[22:23], -v[90:91]
	v_add_f64 v[18:19], v[34:35], v[18:19]
	v_fma_f64 v[34:35], v[0:1], s[10:11], -v[92:93]
	v_add_f64 v[18:19], v[34:35], v[18:19]
	s_mov_b32 s37, 0x3fd207e7
	s_mov_b32 s36, s20
	v_mul_f64 v[34:35], v[82:83], s[28:29]
	v_fma_f64 v[88:89], s[24:25], v[38:39], v[34:35]
	v_mul_f64 v[90:91], v[32:33], s[36:37]
	v_fma_f64 v[94:95], s[10:11], v[0:1], v[92:93]
	v_add_f64 v[88:89], v[52:53], v[88:89]
	v_fma_f64 v[92:93], s[22:23], v[26:27], v[90:91]
	v_add_f64 v[88:89], v[92:93], v[88:89]
	v_mul_f64 v[92:93], v[10:11], s[12:13]
	v_add_f64 v[84:85], v[94:95], v[84:85]
	v_fma_f64 v[94:95], s[10:11], v[8:9], v[92:93]
	v_fma_f64 v[34:35], v[38:39], s[24:25], -v[34:35]
	v_add_f64 v[88:89], v[94:95], v[88:89]
	v_mul_f64 v[94:95], v[4:5], s[30:31]
	v_fma_f64 v[90:91], v[26:27], s[22:23], -v[90:91]
	v_add_f64 v[34:35], v[52:53], v[34:35]
	v_fma_f64 v[96:97], s[18:19], v[2:3], v[94:95]
	v_add_f64 v[34:35], v[90:91], v[34:35]
	v_fma_f64 v[90:91], v[8:9], s[10:11], -v[92:93]
	v_add_f64 v[88:89], v[96:97], v[88:89]
	v_mul_f64 v[96:97], v[86:87], s[16:17]
	v_add_f64 v[34:35], v[90:91], v[34:35]
	v_fma_f64 v[90:91], v[2:3], s[18:19], -v[94:95]
	v_add_f64 v[34:35], v[90:91], v[34:35]
	v_fma_f64 v[90:91], v[0:1], s[14:15], -v[96:97]
	s_mov_b32 s13, 0xbfed1bb4
	v_add_f64 v[34:35], v[90:91], v[34:35]
	v_mul_f64 v[90:91], v[82:83], s[12:13]
	v_fma_f64 v[92:93], s[10:11], v[38:39], v[90:91]
	v_mul_f64 v[94:95], v[32:33], s[16:17]
	v_fma_f64 v[98:99], s[14:15], v[0:1], v[96:97]
	v_add_f64 v[92:93], v[52:53], v[92:93]
	v_fma_f64 v[96:97], s[14:15], v[26:27], v[94:95]
	v_add_f64 v[92:93], v[96:97], v[92:93]
	v_mul_f64 v[96:97], v[10:11], s[36:37]
	v_add_f64 v[88:89], v[98:99], v[88:89]
	v_fma_f64 v[98:99], s[22:23], v[8:9], v[96:97]
	v_fma_f64 v[90:91], v[38:39], s[10:11], -v[90:91]
	v_add_f64 v[92:93], v[98:99], v[92:93]
	v_mul_f64 v[98:99], v[4:5], s[34:35]
	v_fma_f64 v[94:95], v[26:27], s[14:15], -v[94:95]
	v_add_f64 v[90:91], v[52:53], v[90:91]
	v_fma_f64 v[100:101], s[24:25], v[2:3], v[98:99]
	v_add_f64 v[90:91], v[94:95], v[90:91]
	v_fma_f64 v[94:95], v[8:9], s[22:23], -v[96:97]
	v_add_f64 v[92:93], v[100:101], v[92:93]
	v_mul_f64 v[100:101], v[86:87], s[26:27]
	v_add_f64 v[90:91], v[94:95], v[90:91]
	v_fma_f64 v[94:95], v[2:3], s[24:25], -v[98:99]
	v_add_f64 v[90:91], v[94:95], v[90:91]
	v_fma_f64 v[94:95], v[0:1], s[18:19], -v[100:101]
	v_mul_f64 v[82:83], v[82:83], s[30:31]
	v_add_f64 v[90:91], v[94:95], v[90:91]
	v_mul_f64 v[32:33], v[32:33], s[12:13]
	v_fma_f64 v[94:95], s[18:19], v[38:39], v[82:83]
	v_add_f64 v[94:95], v[52:53], v[94:95]
	v_fma_f64 v[96:97], s[10:11], v[26:27], v[32:33]
	v_mul_f64 v[10:11], v[10:11], s[28:29]
	v_add_f64 v[94:95], v[96:97], v[94:95]
	v_fma_f64 v[96:97], s[24:25], v[8:9], v[10:11]
	v_mul_f64 v[4:5], v[4:5], s[16:17]
	v_add_f64 v[94:95], v[96:97], v[94:95]
	v_fma_f64 v[96:97], s[14:15], v[2:3], v[4:5]
	v_fma_f64 v[2:3], v[2:3], s[14:15], -v[4:5]
	v_fma_f64 v[4:5], v[8:9], s[24:25], -v[10:11]
	;; [unrolled: 1-line block ×4, first 2 shown]
	v_add_f64 v[10:11], v[52:53], v[10:11]
	v_add_f64 v[8:9], v[8:9], v[10:11]
	v_mul_f64 v[86:87], v[86:87], s[20:21]
	v_add_f64 v[4:5], v[4:5], v[8:9]
	v_fma_f64 v[102:103], s[18:19], v[0:1], v[100:101]
	v_add_f64 v[94:95], v[96:97], v[94:95]
	v_fma_f64 v[96:97], s[22:23], v[0:1], v[86:87]
	v_fma_f64 v[0:1], v[0:1], s[22:23], -v[86:87]
	v_add_f64 v[2:3], v[2:3], v[4:5]
	v_add_f64 v[0:1], v[0:1], v[2:3]
	;; [unrolled: 1-line block ×9, first 2 shown]
	v_mul_u32_u24_e32 v4, 0xb0, v30
	v_add_f64 v[2:3], v[2:3], v[24:25]
	v_or_b32_e32 v4, v4, v80
	v_add_f64 v[2:3], v[2:3], v[16:17]
	v_lshlrev_b32_e32 v4, 3, v4
	v_add_f64 v[2:3], v[2:3], v[28:29]
	v_add3_u32 v4, 0, v4, v49
	v_add_f64 v[92:93], v[102:103], v[92:93]
	v_add_f64 v[94:95], v[96:97], v[94:95]
	ds_write2_b64 v4, v[2:3], v[0:1] offset1:16
	ds_write2_b64 v4, v[90:91], v[34:35] offset0:32 offset1:48
	ds_write2_b64 v4, v[18:19], v[6:7] offset0:64 offset1:80
	;; [unrolled: 1-line block ×4, first 2 shown]
	ds_write_b64 v4, v[94:95] offset:1280
.LBB0_19:
	s_or_b64 exec, exec, s[4:5]
	v_add_u32_e32 v31, 0x800, v77
	v_add_u32_e32 v32, 0xc00, v77
	s_waitcnt lgkmcnt(0)
	s_barrier
	ds_read2_b64 v[0:3], v31 offset0:8 offset1:96
	ds_read2_b64 v[4:7], v77 offset0:88 offset1:176
	;; [unrolled: 1-line block ×3, first 2 shown]
	ds_read_b64 v[18:19], v76
	ds_read_b64 v[26:27], v77 offset:4928
	s_waitcnt lgkmcnt(0)
	s_barrier
	s_and_saveexec_b64 s[4:5], s[0:1]
	s_cbranch_execz .LBB0_21
; %bb.20:
	v_add_f64 v[34:35], v[42:43], v[70:71]
	v_add_f64 v[34:35], v[34:35], v[64:65]
	v_add_f64 v[34:35], v[34:35], v[58:59]
	v_add_f64 v[34:35], v[34:35], v[54:55]
	v_add_f64 v[34:35], v[34:35], v[40:41]
	v_add_f64 v[34:35], v[34:35], v[44:45]
	v_add_f64 v[34:35], v[34:35], v[56:57]
	v_add_f64 v[34:35], v[34:35], v[60:61]
	s_mov_b32 s18, 0xf8bb580b
	s_mov_b32 s14, 0x43842ef
	;; [unrolled: 1-line block ×4, first 2 shown]
	v_add_f64 v[34:35], v[34:35], v[66:67]
	v_add_f64 v[28:29], v[72:73], -v[28:29]
	s_mov_b32 s19, 0xbfe14ced
	s_mov_b32 s0, 0x8764f0ba
	;; [unrolled: 1-line block ×11, first 2 shown]
	v_add_f64 v[34:35], v[34:35], v[74:75]
	v_add_f64 v[36:37], v[70:71], v[74:75]
	v_mul_f64 v[38:39], v[28:29], s[18:19]
	s_mov_b32 s1, 0x3feaeb8c
	v_mul_f64 v[70:71], v[28:29], s[10:11]
	s_mov_b32 s13, 0x3fda9628
	;; [unrolled: 2-line block ×5, first 2 shown]
	v_fma_f64 v[52:53], s[0:1], v[36:37], v[38:39]
	v_fma_f64 v[38:39], v[36:37], s[0:1], -v[38:39]
	v_fma_f64 v[72:73], s[12:13], v[36:37], v[70:71]
	v_fma_f64 v[70:71], v[36:37], s[12:13], -v[70:71]
	;; [unrolled: 2-line block ×5, first 2 shown]
	v_add_f64 v[16:17], v[68:69], -v[16:17]
	v_add_f64 v[52:53], v[42:43], v[52:53]
	v_add_f64 v[38:39], v[42:43], v[38:39]
	;; [unrolled: 1-line block ×11, first 2 shown]
	v_mul_f64 v[42:43], v[16:17], s[10:11]
	v_fma_f64 v[64:65], s[12:13], v[36:37], v[42:43]
	v_fma_f64 v[42:43], v[36:37], s[12:13], -v[42:43]
	v_add_f64 v[38:39], v[42:43], v[38:39]
	v_mul_f64 v[42:43], v[16:17], s[20:21]
	s_mov_b32 s29, 0x3fd207e7
	s_mov_b32 s28, s24
	v_add_f64 v[52:53], v[64:65], v[52:53]
	v_fma_f64 v[64:65], s[22:23], v[36:37], v[42:43]
	v_fma_f64 v[42:43], v[36:37], s[22:23], -v[42:43]
	v_mul_f64 v[66:67], v[16:17], s[28:29]
	s_mov_b32 s31, 0x3fefac9e
	s_mov_b32 s30, s14
	;; [unrolled: 1-line block ×4, first 2 shown]
	v_add_f64 v[42:43], v[42:43], v[70:71]
	v_fma_f64 v[68:69], s[26:27], v[36:37], v[66:67]
	v_fma_f64 v[66:67], v[36:37], s[26:27], -v[66:67]
	v_mul_f64 v[70:71], v[16:17], s[30:31]
	v_mul_f64 v[16:17], v[16:17], s[34:35]
	v_add_f64 v[66:67], v[66:67], v[74:75]
	v_fma_f64 v[74:75], s[0:1], v[36:37], v[16:17]
	v_fma_f64 v[16:17], v[36:37], s[0:1], -v[16:17]
	v_add_f64 v[24:25], v[62:63], -v[24:25]
	v_add_f64 v[64:65], v[64:65], v[72:73]
	v_fma_f64 v[72:73], s[16:17], v[36:37], v[70:71]
	v_fma_f64 v[70:71], v[36:37], s[16:17], -v[70:71]
	v_add_f64 v[16:17], v[16:17], v[28:29]
	v_add_f64 v[28:29], v[58:59], v[60:61]
	v_mul_f64 v[36:37], v[24:25], s[14:15]
	v_fma_f64 v[58:59], s[16:17], v[28:29], v[36:37]
	v_fma_f64 v[36:37], v[28:29], s[16:17], -v[36:37]
	v_add_f64 v[36:37], v[36:37], v[38:39]
	v_mul_f64 v[38:39], v[24:25], s[28:29]
	v_add_f64 v[52:53], v[58:59], v[52:53]
	v_fma_f64 v[58:59], s[26:27], v[28:29], v[38:39]
	v_fma_f64 v[38:39], v[28:29], s[26:27], -v[38:39]
	s_mov_b32 s11, 0x3fed1bb4
	v_add_f64 v[38:39], v[38:39], v[42:43]
	v_mul_f64 v[42:43], v[24:25], s[10:11]
	v_fma_f64 v[60:61], s[12:13], v[28:29], v[42:43]
	v_fma_f64 v[42:43], v[28:29], s[12:13], -v[42:43]
	v_mul_f64 v[62:63], v[24:25], s[18:19]
	v_mul_f64 v[24:25], v[24:25], s[20:21]
	v_add_f64 v[42:43], v[42:43], v[66:67]
	v_fma_f64 v[66:67], s[22:23], v[28:29], v[24:25]
	v_fma_f64 v[24:25], v[28:29], s[22:23], -v[24:25]
	v_add_f64 v[20:21], v[20:21], -v[22:23]
	v_add_f64 v[16:17], v[24:25], v[16:17]
	v_add_f64 v[24:25], v[54:55], v[56:57]
	v_mul_f64 v[22:23], v[20:21], s[20:21]
	v_add_f64 v[58:59], v[58:59], v[64:65]
	v_fma_f64 v[64:65], s[0:1], v[28:29], v[62:63]
	v_fma_f64 v[62:63], v[28:29], s[0:1], -v[62:63]
	v_fma_f64 v[28:29], s[22:23], v[24:25], v[22:23]
	v_fma_f64 v[22:23], v[24:25], s[22:23], -v[22:23]
	v_add_f64 v[22:23], v[22:23], v[36:37]
	v_mul_f64 v[36:37], v[20:21], s[30:31]
	v_add_f64 v[28:29], v[28:29], v[52:53]
	v_fma_f64 v[52:53], s[16:17], v[24:25], v[36:37]
	v_fma_f64 v[36:37], v[24:25], s[16:17], -v[36:37]
	v_add_f64 v[36:37], v[36:37], v[38:39]
	v_mul_f64 v[38:39], v[20:21], s[18:19]
	v_fma_f64 v[54:55], s[0:1], v[24:25], v[38:39]
	v_fma_f64 v[38:39], v[24:25], s[0:1], -v[38:39]
	v_add_f64 v[38:39], v[38:39], v[42:43]
	v_mul_f64 v[42:43], v[20:21], s[24:25]
	v_mul_f64 v[20:21], v[20:21], s[10:11]
	v_add_f64 v[52:53], v[52:53], v[58:59]
	v_fma_f64 v[58:59], s[12:13], v[24:25], v[20:21]
	v_fma_f64 v[20:21], v[24:25], s[12:13], -v[20:21]
	v_add_f64 v[12:13], v[12:13], -v[14:15]
	v_add_f64 v[16:17], v[20:21], v[16:17]
	v_add_f64 v[20:21], v[40:41], v[44:45]
	v_mul_f64 v[14:15], v[12:13], s[24:25]
	v_fma_f64 v[56:57], s[26:27], v[24:25], v[42:43]
	v_fma_f64 v[42:43], v[24:25], s[26:27], -v[42:43]
	v_fma_f64 v[24:25], s[26:27], v[20:21], v[14:15]
	v_fma_f64 v[14:15], v[20:21], s[26:27], -v[14:15]
	v_add_f64 v[14:15], v[14:15], v[22:23]
	v_mul_f64 v[22:23], v[12:13], s[34:35]
	v_add_f64 v[24:25], v[24:25], v[28:29]
	v_fma_f64 v[28:29], s[0:1], v[20:21], v[22:23]
	v_fma_f64 v[22:23], v[20:21], s[0:1], -v[22:23]
	v_add_f64 v[22:23], v[22:23], v[36:37]
	v_mul_f64 v[36:37], v[12:13], s[20:21]
	v_add_f64 v[70:71], v[70:71], v[84:85]
	v_fma_f64 v[40:41], s[22:23], v[20:21], v[36:37]
	v_fma_f64 v[36:37], v[20:21], s[22:23], -v[36:37]
	v_add_f64 v[62:63], v[62:63], v[70:71]
	v_add_f64 v[36:37], v[36:37], v[38:39]
	v_mul_f64 v[38:39], v[12:13], s[10:11]
	v_add_f64 v[42:43], v[42:43], v[62:63]
	v_fma_f64 v[44:45], s[12:13], v[20:21], v[38:39]
	v_fma_f64 v[38:39], v[20:21], s[12:13], -v[38:39]
	v_mul_f64 v[12:13], v[12:13], s[14:15]
	v_add_f64 v[38:39], v[38:39], v[42:43]
	v_fma_f64 v[42:43], s[16:17], v[20:21], v[12:13]
	v_fma_f64 v[12:13], v[20:21], s[16:17], -v[12:13]
	v_add_f64 v[12:13], v[12:13], v[16:17]
	v_mul_u32_u24_e32 v16, 0xb0, v30
	v_add_f64 v[68:69], v[68:69], v[82:83]
	v_add_f64 v[72:73], v[72:73], v[86:87]
	;; [unrolled: 1-line block ×3, first 2 shown]
	v_or_b32_e32 v16, v16, v80
	v_add_f64 v[60:61], v[60:61], v[68:69]
	v_add_f64 v[64:65], v[64:65], v[72:73]
	;; [unrolled: 1-line block ×3, first 2 shown]
	v_lshlrev_b32_e32 v16, 3, v16
	v_add_f64 v[54:55], v[54:55], v[60:61]
	v_add_f64 v[56:57], v[56:57], v[64:65]
	;; [unrolled: 1-line block ×3, first 2 shown]
	v_add3_u32 v16, 0, v16, v49
	v_add_f64 v[28:29], v[28:29], v[52:53]
	v_add_f64 v[40:41], v[40:41], v[54:55]
	;; [unrolled: 1-line block ×4, first 2 shown]
	ds_write2_b64 v16, v[34:35], v[24:25] offset1:16
	ds_write2_b64 v16, v[28:29], v[40:41] offset0:32 offset1:48
	ds_write2_b64 v16, v[44:45], v[42:43] offset0:64 offset1:80
	;; [unrolled: 1-line block ×4, first 2 shown]
	ds_write_b64 v16, v[14:15] offset:1280
.LBB0_21:
	s_or_b64 exec, exec, s[4:5]
	v_mov_b32_e32 v49, 0
	v_lshl_add_u64 v[14:15], v[48:49], 4, s[8:9]
	s_mov_b64 s[0:1], 0x580
	s_waitcnt lgkmcnt(0)
	s_barrier
	global_load_dwordx4 v[22:25], v[14:15], off offset:2784
	v_lshl_add_u64 v[20:21], v[14:15], 0, s[0:1]
	global_load_dwordx4 v[34:37], v[20:21], off offset:2784
	ds_read2_b64 v[38:41], v31 offset0:8 offset1:96
	ds_read2_b64 v[42:45], v77 offset0:88 offset1:176
	;; [unrolled: 1-line block ×3, first 2 shown]
	ds_read_b64 v[12:13], v76
	ds_read_b64 v[16:17], v77 offset:4928
	v_lshl_add_u32 v30, v78, 3, v79
	v_add_u32_e32 v33, 0x400, v77
	v_add_u32_e32 v60, 0x800, v30
	s_waitcnt lgkmcnt(0)
	s_barrier
	s_waitcnt vmcnt(1)
	v_mul_f64 v[28:29], v[40:41], v[24:25]
	v_mul_f64 v[56:57], v[2:3], v[24:25]
	v_mul_f64 v[58:59], v[54:55], v[24:25]
	v_mul_f64 v[24:25], v[10:11], v[24:25]
	v_fma_f64 v[2:3], v[2:3], v[22:23], -v[28:29]
	v_fmac_f64_e32 v[56:57], v[40:41], v[22:23]
	s_waitcnt vmcnt(0)
	v_mul_f64 v[28:29], v[52:53], v[36:37]
	v_fma_f64 v[10:11], v[10:11], v[22:23], -v[58:59]
	v_fmac_f64_e32 v[24:25], v[54:55], v[22:23]
	v_mul_f64 v[22:23], v[16:17], v[36:37]
	v_mul_f64 v[40:41], v[8:9], v[36:37]
	;; [unrolled: 1-line block ×3, first 2 shown]
	v_fma_f64 v[8:9], v[8:9], v[34:35], -v[28:29]
	v_fma_f64 v[22:23], v[26:27], v[34:35], -v[22:23]
	v_add_f64 v[2:3], v[18:19], -v[2:3]
	v_add_f64 v[26:27], v[12:13], -v[56:57]
	v_fmac_f64_e32 v[36:37], v[16:17], v[34:35]
	v_add_f64 v[10:11], v[6:7], -v[10:11]
	v_fma_f64 v[16:17], v[18:19], 2.0, -v[2:3]
	v_fma_f64 v[18:19], v[12:13], 2.0, -v[26:27]
	v_add_f64 v[8:9], v[4:5], -v[8:9]
	v_add_f64 v[12:13], v[0:1], -v[22:23]
	v_fma_f64 v[6:7], v[6:7], 2.0, -v[10:11]
	v_fma_f64 v[4:5], v[4:5], 2.0, -v[8:9]
	;; [unrolled: 1-line block ×3, first 2 shown]
	ds_write_b64 v77, v[10:11] offset:4224
	ds_write2_b64 v33, v[2:3], v[6:7] offset0:48 offset1:224
	ds_write_b64 v30, v[12:13] offset:4928
	ds_write2_b64 v77, v[16:17], v[4:5] offset1:88
	ds_write2_b64 v60, v[8:9], v[0:1] offset0:8 offset1:184
	s_waitcnt lgkmcnt(0)
	s_barrier
	ds_read2_b64 v[4:7], v31 offset0:8 offset1:96
	ds_read2_b64 v[0:3], v77 offset0:88 offset1:176
	;; [unrolled: 1-line block ×3, first 2 shown]
	ds_read_b64 v[12:13], v76
	ds_read_b64 v[16:17], v77 offset:4928
	v_fmac_f64_e32 v[40:41], v[52:53], v[34:35]
	v_add_f64 v[28:29], v[42:43], -v[40:41]
	v_add_f64 v[24:25], v[44:45], -v[24:25]
	v_add_f64 v[22:23], v[38:39], -v[36:37]
	v_fma_f64 v[36:37], v[42:43], 2.0, -v[28:29]
	v_fma_f64 v[34:35], v[44:45], 2.0, -v[24:25]
	;; [unrolled: 1-line block ×3, first 2 shown]
	s_waitcnt lgkmcnt(0)
	s_barrier
	ds_write2_b64 v77, v[18:19], v[36:37] offset1:88
	ds_write2_b64 v33, v[26:27], v[34:35] offset0:48 offset1:224
	ds_write_b64 v77, v[24:25] offset:4224
	ds_write2_b64 v60, v[28:29], v[38:39] offset0:8 offset1:184
	ds_write_b64 v30, v[22:23] offset:4928
	s_waitcnt lgkmcnt(0)
	s_barrier
	s_and_saveexec_b64 s[0:1], vcc
	s_cbranch_execz .LBB0_23
; %bb.22:
	v_add_co_u32_e32 v18, vcc, 0x2000, v14
	s_movk_i32 s4, 0x1000
	s_nop 0
	v_addc_co_u32_e32 v19, vcc, 0, v15, vcc
	global_load_dwordx4 v[22:25], v[18:19], off offset:1632
	global_load_dwordx4 v[26:29], v[18:19], off offset:224
	v_add_co_u32_e32 v18, vcc, s4, v20
	v_mul_lo_u32 v38, s3, v50
	s_nop 0
	v_addc_co_u32_e32 v19, vcc, 0, v21, vcc
	global_load_dwordx4 v[18:21], v[18:19], off offset:1504
	v_add_co_u32_e32 v14, vcc, s4, v14
	v_mul_lo_u32 v39, s2, v51
	s_nop 0
	v_addc_co_u32_e32 v15, vcc, 0, v15, vcc
	global_load_dwordx4 v[30:33], v[14:15], off offset:1504
	v_mad_u64_u32 v[14:15], s[0:1], s2, v50, 0
	v_add_u32_e32 v40, 0x800, v77
	v_add_u32_e32 v42, 0xc00, v77
	ds_read2_b64 v[34:37], v77 offset0:88 offset1:176
	ds_read_b64 v[50:51], v77 offset:4928
	ds_read_b64 v[52:53], v76
	v_add3_u32 v15, v15, v39, v38
	ds_read2_b64 v[38:41], v40 offset0:8 offset1:96
	ds_read2_b64 v[42:45], v42 offset0:56 offset1:144
	s_mov_b32 s0, 0xba2e8ba3
	v_add_u32_e32 v54, 0x58, v48
	v_mul_hi_u32 v56, v48, s0
	v_mul_hi_u32 v58, v54, s0
	v_lshrrev_b32_e32 v56, 8, v56
	v_lshl_add_u64 v[14:15], v[14:15], 4, s[6:7]
	v_lshrrev_b32_e32 v58, 8, v58
	v_mul_u32_u24_e32 v56, 0x160, v56
	v_lshl_add_u64 v[46:47], v[46:47], 4, v[14:15]
	v_mul_u32_u24_e32 v14, 0x160, v58
	v_sub_u32_e32 v15, v48, v56
	v_mov_b32_e32 v55, v49
	s_movk_i32 s1, 0x2c0
	v_sub_u32_e32 v14, v54, v14
	v_lshlrev_b32_e32 v54, 4, v15
	v_mad_u32_u24 v56, v58, s1, v14
	v_lshl_add_u64 v[54:55], v[46:47], 0, v[54:55]
	v_add_co_u32_e32 v60, vcc, s4, v54
	v_mov_b32_e32 v57, v49
	s_nop 0
	v_addc_co_u32_e32 v61, vcc, 0, v55, vcc
	v_lshl_add_u64 v[58:59], v[56:57], 4, v[46:47]
	s_waitcnt vmcnt(3)
	v_mul_f64 v[14:15], v[16:17], v[24:25]
	s_waitcnt lgkmcnt(3)
	v_mul_f64 v[24:25], v[50:51], v[24:25]
	s_waitcnt vmcnt(2)
	v_mul_f64 v[62:63], v[10:11], v[28:29]
	v_fmac_f64_e32 v[14:15], v[50:51], v[22:23]
	v_fma_f64 v[16:17], v[16:17], v[22:23], -v[24:25]
	s_waitcnt lgkmcnt(0)
	v_fmac_f64_e32 v[62:63], v[44:45], v[26:27]
	v_mul_f64 v[28:29], v[44:45], v[28:29]
	s_waitcnt vmcnt(1)
	v_mul_f64 v[64:65], v[8:9], v[20:21]
	v_mul_f64 v[20:21], v[42:43], v[20:21]
	v_fmac_f64_e32 v[64:65], v[42:43], v[18:19]
	v_fma_f64 v[18:19], v[8:9], v[18:19], -v[20:21]
	v_add_f64 v[18:19], v[0:1], -v[18:19]
	v_add_f64 v[20:21], v[34:35], -v[64:65]
	s_waitcnt vmcnt(0)
	v_mul_f64 v[66:67], v[6:7], v[32:33]
	v_mul_f64 v[32:33], v[40:41], v[32:33]
	v_fmac_f64_e32 v[66:67], v[40:41], v[30:31]
	v_fma_f64 v[22:23], v[6:7], v[30:31], -v[32:33]
	v_fma_f64 v[30:31], v[0:1], 2.0, -v[18:19]
	v_add_u32_e32 v0, 0x160, v56
	v_mov_b32_e32 v1, v49
	v_add_f64 v[6:7], v[4:5], -v[16:17]
	v_add_f64 v[16:17], v[36:37], -v[62:63]
	;; [unrolled: 1-line block ×4, first 2 shown]
	v_lshl_add_u64 v[0:1], v[0:1], 4, v[46:47]
	v_fma_f64 v[10:11], v[10:11], v[26:27], -v[28:29]
	v_fma_f64 v[26:27], v[4:5], 2.0, -v[6:7]
	v_fma_f64 v[4:5], v[36:37], 2.0, -v[16:17]
	;; [unrolled: 1-line block ×5, first 2 shown]
	global_store_dwordx4 v[60:61], v[22:25], off offset:1536
	global_store_dwordx4 v[54:55], v[34:37], off
	global_store_dwordx4 v[58:59], v[30:33], off
	;; [unrolled: 1-line block ×3, first 2 shown]
	v_add_u32_e32 v0, 0xb0, v48
	v_mul_hi_u32 v1, v0, s0
	v_lshrrev_b32_e32 v1, 8, v1
	v_add_f64 v[8:9], v[38:39], -v[14:15]
	v_add_f64 v[14:15], v[2:3], -v[10:11]
	v_mul_u32_u24_e32 v10, 0x160, v1
	v_sub_u32_e32 v0, v0, v10
	v_mad_u32_u24 v0, v1, s1, v0
	v_mov_b32_e32 v1, v49
	v_lshl_add_u64 v[10:11], v[0:1], 4, v[46:47]
	v_add_u32_e32 v0, 0x160, v0
	v_lshl_add_u64 v[0:1], v[0:1], 4, v[46:47]
	global_store_dwordx4 v[0:1], v[14:17], off
	v_add_u32_e32 v0, 0x108, v48
	v_mul_hi_u32 v1, v0, s0
	v_fma_f64 v[2:3], v[2:3], 2.0, -v[14:15]
	v_lshrrev_b32_e32 v1, 8, v1
	global_store_dwordx4 v[10:11], v[2:5], off
	v_fma_f64 v[28:29], v[38:39], 2.0, -v[8:9]
	s_nop 0
	v_mul_u32_u24_e32 v2, 0x160, v1
	v_sub_u32_e32 v0, v0, v2
	v_mad_u32_u24 v48, v1, s1, v0
	v_lshl_add_u64 v[0:1], v[48:49], 4, v[46:47]
	v_add_u32_e32 v48, 0x160, v48
	global_store_dwordx4 v[0:1], v[26:29], off
	v_lshl_add_u64 v[0:1], v[48:49], 4, v[46:47]
	global_store_dwordx4 v[0:1], v[6:9], off
.LBB0_23:
	s_endpgm
	.section	.rodata,"a",@progbits
	.p2align	6, 0x0
	.amdhsa_kernel fft_rtc_fwd_len704_factors_2_2_2_2_11_2_2_wgs_176_tpt_88_halfLds_dp_op_CI_CI_unitstride_sbrr_dirReg
		.amdhsa_group_segment_fixed_size 0
		.amdhsa_private_segment_fixed_size 0
		.amdhsa_kernarg_size 104
		.amdhsa_user_sgpr_count 2
		.amdhsa_user_sgpr_dispatch_ptr 0
		.amdhsa_user_sgpr_queue_ptr 0
		.amdhsa_user_sgpr_kernarg_segment_ptr 1
		.amdhsa_user_sgpr_dispatch_id 0
		.amdhsa_user_sgpr_kernarg_preload_length 0
		.amdhsa_user_sgpr_kernarg_preload_offset 0
		.amdhsa_user_sgpr_private_segment_size 0
		.amdhsa_uses_dynamic_stack 0
		.amdhsa_enable_private_segment 0
		.amdhsa_system_sgpr_workgroup_id_x 1
		.amdhsa_system_sgpr_workgroup_id_y 0
		.amdhsa_system_sgpr_workgroup_id_z 0
		.amdhsa_system_sgpr_workgroup_info 0
		.amdhsa_system_vgpr_workitem_id 0
		.amdhsa_next_free_vgpr 120
		.amdhsa_next_free_sgpr 38
		.amdhsa_accum_offset 120
		.amdhsa_reserve_vcc 1
		.amdhsa_float_round_mode_32 0
		.amdhsa_float_round_mode_16_64 0
		.amdhsa_float_denorm_mode_32 3
		.amdhsa_float_denorm_mode_16_64 3
		.amdhsa_dx10_clamp 1
		.amdhsa_ieee_mode 1
		.amdhsa_fp16_overflow 0
		.amdhsa_tg_split 0
		.amdhsa_exception_fp_ieee_invalid_op 0
		.amdhsa_exception_fp_denorm_src 0
		.amdhsa_exception_fp_ieee_div_zero 0
		.amdhsa_exception_fp_ieee_overflow 0
		.amdhsa_exception_fp_ieee_underflow 0
		.amdhsa_exception_fp_ieee_inexact 0
		.amdhsa_exception_int_div_zero 0
	.end_amdhsa_kernel
	.text
.Lfunc_end0:
	.size	fft_rtc_fwd_len704_factors_2_2_2_2_11_2_2_wgs_176_tpt_88_halfLds_dp_op_CI_CI_unitstride_sbrr_dirReg, .Lfunc_end0-fft_rtc_fwd_len704_factors_2_2_2_2_11_2_2_wgs_176_tpt_88_halfLds_dp_op_CI_CI_unitstride_sbrr_dirReg
                                        ; -- End function
	.section	.AMDGPU.csdata,"",@progbits
; Kernel info:
; codeLenInByte = 8236
; NumSgprs: 44
; NumVgprs: 120
; NumAgprs: 0
; TotalNumVgprs: 120
; ScratchSize: 0
; MemoryBound: 1
; FloatMode: 240
; IeeeMode: 1
; LDSByteSize: 0 bytes/workgroup (compile time only)
; SGPRBlocks: 5
; VGPRBlocks: 14
; NumSGPRsForWavesPerEU: 44
; NumVGPRsForWavesPerEU: 120
; AccumOffset: 120
; Occupancy: 4
; WaveLimiterHint : 1
; COMPUTE_PGM_RSRC2:SCRATCH_EN: 0
; COMPUTE_PGM_RSRC2:USER_SGPR: 2
; COMPUTE_PGM_RSRC2:TRAP_HANDLER: 0
; COMPUTE_PGM_RSRC2:TGID_X_EN: 1
; COMPUTE_PGM_RSRC2:TGID_Y_EN: 0
; COMPUTE_PGM_RSRC2:TGID_Z_EN: 0
; COMPUTE_PGM_RSRC2:TIDIG_COMP_CNT: 0
; COMPUTE_PGM_RSRC3_GFX90A:ACCUM_OFFSET: 29
; COMPUTE_PGM_RSRC3_GFX90A:TG_SPLIT: 0
	.text
	.p2alignl 6, 3212836864
	.fill 256, 4, 3212836864
	.type	__hip_cuid_639ab0ad84ef5cf5,@object ; @__hip_cuid_639ab0ad84ef5cf5
	.section	.bss,"aw",@nobits
	.globl	__hip_cuid_639ab0ad84ef5cf5
__hip_cuid_639ab0ad84ef5cf5:
	.byte	0                               ; 0x0
	.size	__hip_cuid_639ab0ad84ef5cf5, 1

	.ident	"AMD clang version 19.0.0git (https://github.com/RadeonOpenCompute/llvm-project roc-6.4.0 25133 c7fe45cf4b819c5991fe208aaa96edf142730f1d)"
	.section	".note.GNU-stack","",@progbits
	.addrsig
	.addrsig_sym __hip_cuid_639ab0ad84ef5cf5
	.amdgpu_metadata
---
amdhsa.kernels:
  - .agpr_count:     0
    .args:
      - .actual_access:  read_only
        .address_space:  global
        .offset:         0
        .size:           8
        .value_kind:     global_buffer
      - .offset:         8
        .size:           8
        .value_kind:     by_value
      - .actual_access:  read_only
        .address_space:  global
        .offset:         16
        .size:           8
        .value_kind:     global_buffer
      - .actual_access:  read_only
        .address_space:  global
        .offset:         24
        .size:           8
        .value_kind:     global_buffer
      - .actual_access:  read_only
        .address_space:  global
        .offset:         32
        .size:           8
        .value_kind:     global_buffer
      - .offset:         40
        .size:           8
        .value_kind:     by_value
      - .actual_access:  read_only
        .address_space:  global
        .offset:         48
        .size:           8
        .value_kind:     global_buffer
      - .actual_access:  read_only
        .address_space:  global
        .offset:         56
        .size:           8
        .value_kind:     global_buffer
      - .offset:         64
        .size:           4
        .value_kind:     by_value
      - .actual_access:  read_only
        .address_space:  global
        .offset:         72
        .size:           8
        .value_kind:     global_buffer
      - .actual_access:  read_only
        .address_space:  global
        .offset:         80
        .size:           8
        .value_kind:     global_buffer
      - .actual_access:  read_only
        .address_space:  global
        .offset:         88
        .size:           8
        .value_kind:     global_buffer
      - .actual_access:  write_only
        .address_space:  global
        .offset:         96
        .size:           8
        .value_kind:     global_buffer
    .group_segment_fixed_size: 0
    .kernarg_segment_align: 8
    .kernarg_segment_size: 104
    .language:       OpenCL C
    .language_version:
      - 2
      - 0
    .max_flat_workgroup_size: 176
    .name:           fft_rtc_fwd_len704_factors_2_2_2_2_11_2_2_wgs_176_tpt_88_halfLds_dp_op_CI_CI_unitstride_sbrr_dirReg
    .private_segment_fixed_size: 0
    .sgpr_count:     44
    .sgpr_spill_count: 0
    .symbol:         fft_rtc_fwd_len704_factors_2_2_2_2_11_2_2_wgs_176_tpt_88_halfLds_dp_op_CI_CI_unitstride_sbrr_dirReg.kd
    .uniform_work_group_size: 1
    .uses_dynamic_stack: false
    .vgpr_count:     120
    .vgpr_spill_count: 0
    .wavefront_size: 64
amdhsa.target:   amdgcn-amd-amdhsa--gfx950
amdhsa.version:
  - 1
  - 2
...

	.end_amdgpu_metadata
